;; amdgpu-corpus repo=ROCm/rocFFT kind=compiled arch=gfx1201 opt=O3
	.text
	.amdgcn_target "amdgcn-amd-amdhsa--gfx1201"
	.amdhsa_code_object_version 6
	.protected	fft_rtc_back_len26_factors_13_2_wgs_64_tpt_2_halfLds_dp_op_CI_CI_unitstride_sbrr_C2R_dirReg ; -- Begin function fft_rtc_back_len26_factors_13_2_wgs_64_tpt_2_halfLds_dp_op_CI_CI_unitstride_sbrr_C2R_dirReg
	.globl	fft_rtc_back_len26_factors_13_2_wgs_64_tpt_2_halfLds_dp_op_CI_CI_unitstride_sbrr_C2R_dirReg
	.p2align	8
	.type	fft_rtc_back_len26_factors_13_2_wgs_64_tpt_2_halfLds_dp_op_CI_CI_unitstride_sbrr_C2R_dirReg,@function
fft_rtc_back_len26_factors_13_2_wgs_64_tpt_2_halfLds_dp_op_CI_CI_unitstride_sbrr_C2R_dirReg: ; @fft_rtc_back_len26_factors_13_2_wgs_64_tpt_2_halfLds_dp_op_CI_CI_unitstride_sbrr_C2R_dirReg
; %bb.0:
	s_clause 0x2
	s_load_b128 s[8:11], s[0:1], 0x0
	s_load_b128 s[4:7], s[0:1], 0x58
	;; [unrolled: 1-line block ×3, first 2 shown]
	v_lshrrev_b32_e32 v7, 1, v0
	v_mov_b32_e32 v3, 0
	v_mov_b32_e32 v1, 0
	;; [unrolled: 1-line block ×3, first 2 shown]
	s_delay_alu instid0(VALU_DEP_4) | instskip(NEXT) | instid1(VALU_DEP_4)
	v_lshl_or_b32 v5, ttmp9, 5, v7
	v_mov_b32_e32 v6, v3
	s_wait_kmcnt 0x0
	v_cmp_lt_u64_e64 s2, s[10:11], 2
	s_delay_alu instid0(VALU_DEP_1)
	s_and_b32 vcc_lo, exec_lo, s2
	s_cbranch_vccnz .LBB0_8
; %bb.1:
	s_load_b64 s[2:3], s[0:1], 0x10
	v_mov_b32_e32 v1, 0
	v_mov_b32_e32 v2, 0
	s_add_nc_u64 s[16:17], s[14:15], 8
	s_add_nc_u64 s[18:19], s[12:13], 8
	s_mov_b64 s[20:21], 1
	s_delay_alu instid0(VALU_DEP_1)
	v_dual_mov_b32 v57, v2 :: v_dual_mov_b32 v56, v1
	s_wait_kmcnt 0x0
	s_add_nc_u64 s[22:23], s[2:3], 8
	s_mov_b32 s3, 0
.LBB0_2:                                ; =>This Inner Loop Header: Depth=1
	s_load_b64 s[24:25], s[22:23], 0x0
                                        ; implicit-def: $vgpr58_vgpr59
	s_mov_b32 s2, exec_lo
	s_wait_kmcnt 0x0
	v_or_b32_e32 v4, s25, v6
	s_delay_alu instid0(VALU_DEP_1)
	v_cmpx_ne_u64_e32 0, v[3:4]
	s_wait_alu 0xfffe
	s_xor_b32 s26, exec_lo, s2
	s_cbranch_execz .LBB0_4
; %bb.3:                                ;   in Loop: Header=BB0_2 Depth=1
	s_cvt_f32_u32 s2, s24
	s_cvt_f32_u32 s27, s25
	s_sub_nc_u64 s[30:31], 0, s[24:25]
	s_wait_alu 0xfffe
	s_delay_alu instid0(SALU_CYCLE_1) | instskip(SKIP_1) | instid1(SALU_CYCLE_2)
	s_fmamk_f32 s2, s27, 0x4f800000, s2
	s_wait_alu 0xfffe
	v_s_rcp_f32 s2, s2
	s_delay_alu instid0(TRANS32_DEP_1) | instskip(SKIP_1) | instid1(SALU_CYCLE_2)
	s_mul_f32 s2, s2, 0x5f7ffffc
	s_wait_alu 0xfffe
	s_mul_f32 s27, s2, 0x2f800000
	s_wait_alu 0xfffe
	s_delay_alu instid0(SALU_CYCLE_2) | instskip(SKIP_1) | instid1(SALU_CYCLE_2)
	s_trunc_f32 s27, s27
	s_wait_alu 0xfffe
	s_fmamk_f32 s2, s27, 0xcf800000, s2
	s_cvt_u32_f32 s29, s27
	s_wait_alu 0xfffe
	s_delay_alu instid0(SALU_CYCLE_1) | instskip(SKIP_1) | instid1(SALU_CYCLE_2)
	s_cvt_u32_f32 s28, s2
	s_wait_alu 0xfffe
	s_mul_u64 s[34:35], s[30:31], s[28:29]
	s_wait_alu 0xfffe
	s_mul_hi_u32 s37, s28, s35
	s_mul_i32 s36, s28, s35
	s_mul_hi_u32 s2, s28, s34
	s_mul_i32 s33, s29, s34
	s_wait_alu 0xfffe
	s_add_nc_u64 s[36:37], s[2:3], s[36:37]
	s_mul_hi_u32 s27, s29, s34
	s_mul_hi_u32 s38, s29, s35
	s_add_co_u32 s2, s36, s33
	s_wait_alu 0xfffe
	s_add_co_ci_u32 s2, s37, s27
	s_mul_i32 s34, s29, s35
	s_add_co_ci_u32 s35, s38, 0
	s_wait_alu 0xfffe
	s_add_nc_u64 s[34:35], s[2:3], s[34:35]
	s_wait_alu 0xfffe
	v_add_co_u32 v4, s2, s28, s34
	s_delay_alu instid0(VALU_DEP_1) | instskip(SKIP_1) | instid1(VALU_DEP_1)
	s_cmp_lg_u32 s2, 0
	s_add_co_ci_u32 s29, s29, s35
	v_readfirstlane_b32 s28, v4
	s_wait_alu 0xfffe
	s_delay_alu instid0(VALU_DEP_1)
	s_mul_u64 s[30:31], s[30:31], s[28:29]
	s_wait_alu 0xfffe
	s_mul_hi_u32 s35, s28, s31
	s_mul_i32 s34, s28, s31
	s_mul_hi_u32 s2, s28, s30
	s_mul_i32 s33, s29, s30
	s_wait_alu 0xfffe
	s_add_nc_u64 s[34:35], s[2:3], s[34:35]
	s_mul_hi_u32 s27, s29, s30
	s_mul_hi_u32 s28, s29, s31
	s_wait_alu 0xfffe
	s_add_co_u32 s2, s34, s33
	s_add_co_ci_u32 s2, s35, s27
	s_mul_i32 s30, s29, s31
	s_add_co_ci_u32 s31, s28, 0
	s_wait_alu 0xfffe
	s_add_nc_u64 s[30:31], s[2:3], s[30:31]
	s_wait_alu 0xfffe
	v_add_co_u32 v4, s2, v4, s30
	s_delay_alu instid0(VALU_DEP_1) | instskip(SKIP_1) | instid1(VALU_DEP_1)
	s_cmp_lg_u32 s2, 0
	s_add_co_ci_u32 s2, s29, s31
	v_mul_hi_u32 v14, v5, v4
	s_wait_alu 0xfffe
	v_mad_co_u64_u32 v[8:9], null, v5, s2, 0
	v_mad_co_u64_u32 v[10:11], null, v6, v4, 0
	;; [unrolled: 1-line block ×3, first 2 shown]
	s_delay_alu instid0(VALU_DEP_3) | instskip(SKIP_1) | instid1(VALU_DEP_4)
	v_add_co_u32 v4, vcc_lo, v14, v8
	s_wait_alu 0xfffd
	v_add_co_ci_u32_e32 v8, vcc_lo, 0, v9, vcc_lo
	s_delay_alu instid0(VALU_DEP_2) | instskip(SKIP_1) | instid1(VALU_DEP_2)
	v_add_co_u32 v4, vcc_lo, v4, v10
	s_wait_alu 0xfffd
	v_add_co_ci_u32_e32 v4, vcc_lo, v8, v11, vcc_lo
	s_wait_alu 0xfffd
	v_add_co_ci_u32_e32 v8, vcc_lo, 0, v13, vcc_lo
	s_delay_alu instid0(VALU_DEP_2) | instskip(SKIP_1) | instid1(VALU_DEP_2)
	v_add_co_u32 v4, vcc_lo, v4, v12
	s_wait_alu 0xfffd
	v_add_co_ci_u32_e32 v10, vcc_lo, 0, v8, vcc_lo
	s_delay_alu instid0(VALU_DEP_2) | instskip(SKIP_1) | instid1(VALU_DEP_3)
	v_mul_lo_u32 v11, s25, v4
	v_mad_co_u64_u32 v[8:9], null, s24, v4, 0
	v_mul_lo_u32 v12, s24, v10
	s_delay_alu instid0(VALU_DEP_2) | instskip(NEXT) | instid1(VALU_DEP_2)
	v_sub_co_u32 v8, vcc_lo, v5, v8
	v_add3_u32 v9, v9, v12, v11
	s_delay_alu instid0(VALU_DEP_1) | instskip(SKIP_1) | instid1(VALU_DEP_1)
	v_sub_nc_u32_e32 v11, v6, v9
	s_wait_alu 0xfffd
	v_subrev_co_ci_u32_e64 v11, s2, s25, v11, vcc_lo
	v_add_co_u32 v12, s2, v4, 2
	s_wait_alu 0xf1ff
	v_add_co_ci_u32_e64 v13, s2, 0, v10, s2
	v_sub_co_u32 v14, s2, v8, s24
	v_sub_co_ci_u32_e32 v9, vcc_lo, v6, v9, vcc_lo
	s_wait_alu 0xf1ff
	v_subrev_co_ci_u32_e64 v11, s2, 0, v11, s2
	s_delay_alu instid0(VALU_DEP_3) | instskip(NEXT) | instid1(VALU_DEP_3)
	v_cmp_le_u32_e32 vcc_lo, s24, v14
	v_cmp_eq_u32_e64 s2, s25, v9
	s_wait_alu 0xfffd
	v_cndmask_b32_e64 v14, 0, -1, vcc_lo
	v_cmp_le_u32_e32 vcc_lo, s25, v11
	s_wait_alu 0xfffd
	v_cndmask_b32_e64 v15, 0, -1, vcc_lo
	v_cmp_le_u32_e32 vcc_lo, s24, v8
	;; [unrolled: 3-line block ×3, first 2 shown]
	s_wait_alu 0xfffd
	v_cndmask_b32_e64 v16, 0, -1, vcc_lo
	v_cmp_eq_u32_e32 vcc_lo, s25, v11
	s_wait_alu 0xf1ff
	s_delay_alu instid0(VALU_DEP_2)
	v_cndmask_b32_e64 v8, v16, v8, s2
	s_wait_alu 0xfffd
	v_cndmask_b32_e32 v11, v15, v14, vcc_lo
	v_add_co_u32 v14, vcc_lo, v4, 1
	s_wait_alu 0xfffd
	v_add_co_ci_u32_e32 v15, vcc_lo, 0, v10, vcc_lo
	s_delay_alu instid0(VALU_DEP_3) | instskip(SKIP_2) | instid1(VALU_DEP_3)
	v_cmp_ne_u32_e32 vcc_lo, 0, v11
	s_wait_alu 0xfffd
	v_cndmask_b32_e32 v11, v14, v12, vcc_lo
	v_cndmask_b32_e32 v9, v15, v13, vcc_lo
	v_cmp_ne_u32_e32 vcc_lo, 0, v8
	s_wait_alu 0xfffd
	s_delay_alu instid0(VALU_DEP_2)
	v_dual_cndmask_b32 v58, v4, v11 :: v_dual_cndmask_b32 v59, v10, v9
.LBB0_4:                                ;   in Loop: Header=BB0_2 Depth=1
	s_wait_alu 0xfffe
	s_and_not1_saveexec_b32 s2, s26
	s_cbranch_execz .LBB0_6
; %bb.5:                                ;   in Loop: Header=BB0_2 Depth=1
	v_cvt_f32_u32_e32 v4, s24
	s_sub_co_i32 s26, 0, s24
	v_mov_b32_e32 v59, v3
	s_delay_alu instid0(VALU_DEP_2) | instskip(NEXT) | instid1(TRANS32_DEP_1)
	v_rcp_iflag_f32_e32 v4, v4
	v_mul_f32_e32 v4, 0x4f7ffffe, v4
	s_delay_alu instid0(VALU_DEP_1) | instskip(SKIP_1) | instid1(VALU_DEP_1)
	v_cvt_u32_f32_e32 v4, v4
	s_wait_alu 0xfffe
	v_mul_lo_u32 v8, s26, v4
	s_delay_alu instid0(VALU_DEP_1) | instskip(NEXT) | instid1(VALU_DEP_1)
	v_mul_hi_u32 v8, v4, v8
	v_add_nc_u32_e32 v4, v4, v8
	s_delay_alu instid0(VALU_DEP_1) | instskip(NEXT) | instid1(VALU_DEP_1)
	v_mul_hi_u32 v4, v5, v4
	v_mul_lo_u32 v8, v4, s24
	s_delay_alu instid0(VALU_DEP_1) | instskip(NEXT) | instid1(VALU_DEP_1)
	v_sub_nc_u32_e32 v8, v5, v8
	v_subrev_nc_u32_e32 v10, s24, v8
	v_cmp_le_u32_e32 vcc_lo, s24, v8
	s_wait_alu 0xfffd
	s_delay_alu instid0(VALU_DEP_2) | instskip(NEXT) | instid1(VALU_DEP_1)
	v_dual_cndmask_b32 v8, v8, v10 :: v_dual_add_nc_u32 v9, 1, v4
	v_cndmask_b32_e32 v4, v4, v9, vcc_lo
	s_delay_alu instid0(VALU_DEP_2) | instskip(NEXT) | instid1(VALU_DEP_2)
	v_cmp_le_u32_e32 vcc_lo, s24, v8
	v_add_nc_u32_e32 v9, 1, v4
	s_wait_alu 0xfffd
	s_delay_alu instid0(VALU_DEP_1)
	v_cndmask_b32_e32 v58, v4, v9, vcc_lo
.LBB0_6:                                ;   in Loop: Header=BB0_2 Depth=1
	s_wait_alu 0xfffe
	s_or_b32 exec_lo, exec_lo, s2
	v_mul_lo_u32 v4, v59, s24
	s_delay_alu instid0(VALU_DEP_2)
	v_mul_lo_u32 v10, v58, s25
	s_load_b64 s[26:27], s[18:19], 0x0
	v_mad_co_u64_u32 v[8:9], null, v58, s24, 0
	s_load_b64 s[24:25], s[16:17], 0x0
	s_add_nc_u64 s[20:21], s[20:21], 1
	s_add_nc_u64 s[16:17], s[16:17], 8
	s_wait_alu 0xfffe
	v_cmp_ge_u64_e64 s2, s[20:21], s[10:11]
	s_add_nc_u64 s[18:19], s[18:19], 8
	s_add_nc_u64 s[22:23], s[22:23], 8
	v_add3_u32 v4, v9, v10, v4
	v_sub_co_u32 v5, vcc_lo, v5, v8
	s_wait_alu 0xfffd
	s_delay_alu instid0(VALU_DEP_2) | instskip(SKIP_2) | instid1(VALU_DEP_1)
	v_sub_co_ci_u32_e32 v4, vcc_lo, v6, v4, vcc_lo
	s_and_b32 vcc_lo, exec_lo, s2
	s_wait_kmcnt 0x0
	v_mul_lo_u32 v6, s26, v4
	v_mul_lo_u32 v8, s27, v5
	v_mad_co_u64_u32 v[1:2], null, s26, v5, v[1:2]
	v_mul_lo_u32 v4, s24, v4
	v_mul_lo_u32 v9, s25, v5
	v_mad_co_u64_u32 v[56:57], null, s24, v5, v[56:57]
	s_delay_alu instid0(VALU_DEP_4) | instskip(NEXT) | instid1(VALU_DEP_2)
	v_add3_u32 v2, v8, v2, v6
	v_add3_u32 v57, v9, v57, v4
	s_wait_alu 0xfffe
	s_cbranch_vccnz .LBB0_9
; %bb.7:                                ;   in Loop: Header=BB0_2 Depth=1
	v_dual_mov_b32 v5, v58 :: v_dual_mov_b32 v6, v59
	s_branch .LBB0_2
.LBB0_8:
	v_dual_mov_b32 v57, v2 :: v_dual_mov_b32 v56, v1
	v_dual_mov_b32 v59, v6 :: v_dual_mov_b32 v58, v5
.LBB0_9:
	s_load_b64 s[0:1], s[0:1], 0x28
	v_and_b32_e32 v38, 1, v0
	s_lshl_b64 s[10:11], s[10:11], 3
                                        ; implicit-def: $vgpr4_vgpr5
	s_wait_alu 0xfffe
	s_add_nc_u64 s[2:3], s[14:15], s[10:11]
	s_wait_kmcnt 0x0
	v_cmp_gt_u64_e32 vcc_lo, s[0:1], v[58:59]
	v_cmp_le_u64_e64 s0, s[0:1], v[58:59]
	s_delay_alu instid0(VALU_DEP_1)
	s_and_saveexec_b32 s1, s0
	s_wait_alu 0xfffe
	s_xor_b32 s0, exec_lo, s1
; %bb.10:
	v_mov_b32_e32 v39, 0
	v_mov_b32_e32 v4, v38
                                        ; implicit-def: $vgpr1_vgpr2
	s_delay_alu instid0(VALU_DEP_2)
	v_mov_b32_e32 v5, v39
; %bb.11:
	s_wait_alu 0xfffe
	s_or_saveexec_b32 s1, s0
	s_load_b64 s[2:3], s[2:3], 0x0
	v_mul_u32_u24_e32 v65, 27, v7
                                        ; implicit-def: $vgpr60
	s_delay_alu instid0(VALU_DEP_1)
	v_lshlrev_b32_e32 v55, 4, v65
	s_xor_b32 exec_lo, exec_lo, s1
	s_cbranch_execz .LBB0_15
; %bb.12:
	s_add_nc_u64 s[10:11], s[12:13], s[10:11]
	v_mov_b32_e32 v60, 0
	s_load_b64 s[10:11], s[10:11], 0x0
	s_wait_kmcnt 0x0
	v_mul_lo_u32 v0, s11, v58
	v_mul_lo_u32 v5, s10, v59
	v_mad_co_u64_u32 v[3:4], null, s10, v58, 0
	s_delay_alu instid0(VALU_DEP_1) | instskip(SKIP_1) | instid1(VALU_DEP_2)
	v_add3_u32 v4, v4, v5, v0
	v_lshlrev_b64_e32 v[0:1], 4, v[1:2]
	v_lshlrev_b64_e32 v[3:4], 4, v[3:4]
	s_delay_alu instid0(VALU_DEP_1) | instskip(SKIP_1) | instid1(VALU_DEP_2)
	v_add_co_u32 v2, s0, s4, v3
	s_wait_alu 0xf1ff
	v_add_co_ci_u32_e64 v3, s0, s5, v4, s0
	v_lshlrev_b32_e32 v4, 4, v38
	s_delay_alu instid0(VALU_DEP_3) | instskip(SKIP_1) | instid1(VALU_DEP_3)
	v_add_co_u32 v0, s0, v2, v0
	s_wait_alu 0xf1ff
	v_add_co_ci_u32_e64 v1, s0, v3, v1, s0
	s_delay_alu instid0(VALU_DEP_3) | instskip(NEXT) | instid1(VALU_DEP_3)
	v_add3_u32 v2, 0, v55, v4
	v_add_co_u32 v0, s0, v0, v4
	s_wait_alu 0xf1ff
	s_delay_alu instid0(VALU_DEP_3)
	v_add_co_ci_u32_e64 v1, s0, 0, v1, s0
	v_mov_b32_e32 v4, 0
	v_mov_b32_e32 v5, 0
	s_clause 0xc
	global_load_b128 v[6:9], v[0:1], off
	global_load_b128 v[10:13], v[0:1], off offset:32
	global_load_b128 v[14:17], v[0:1], off offset:64
	;; [unrolled: 1-line block ×12, first 2 shown]
	s_mov_b32 s4, exec_lo
	s_wait_loadcnt 0xc
	ds_store_b128 v2, v[6:9]
	s_wait_loadcnt 0xb
	ds_store_b128 v2, v[10:13] offset:32
	s_wait_loadcnt 0xa
	ds_store_b128 v2, v[14:17] offset:64
	;; [unrolled: 2-line block ×12, first 2 shown]
	v_cmpx_eq_u32_e32 1, v38
	s_cbranch_execz .LBB0_14
; %bb.13:
	global_load_b128 v[6:9], v[0:1], off offset:400
	v_dual_mov_b32 v39, v60 :: v_dual_mov_b32 v60, 1
	s_delay_alu instid0(VALU_DEP_1)
	v_dual_mov_b32 v4, v38 :: v_dual_mov_b32 v5, v39
	s_wait_loadcnt 0x0
	ds_store_b128 v2, v[6:9] offset:400
.LBB0_14:
	s_wait_alu 0xfffe
	s_or_b32 exec_lo, exec_lo, s4
	v_mov_b32_e32 v38, v60
.LBB0_15:
	s_or_b32 exec_lo, exec_lo, s1
	v_lshl_add_u32 v75, v65, 4, 0
	s_delay_alu instid0(VALU_DEP_2)
	v_lshlrev_b32_e32 v0, 4, v38
	scratch_store_b32 off, v65, off offset:8 ; 4-byte Folded Spill
	global_wb scope:SCOPE_SE
	s_wait_storecnt_dscnt 0x0
	s_wait_kmcnt 0x0
	s_barrier_signal -1
	s_barrier_wait -1
	v_add_nc_u32_e32 v73, v75, v0
	v_sub_nc_u32_e32 v10, v75, v0
	global_inv scope:SCOPE_SE
	v_lshlrev_b64_e32 v[4:5], 4, v[4:5]
	ds_load_b64 v[6:7], v73
	ds_load_b64 v[8:9], v10 offset:416
	v_cmp_eq_u32_e64 s0, 0, v38
	s_mov_b32 s4, exec_lo
	scratch_store_b64 off, v[4:5], off      ; 8-byte Folded Spill
	s_wait_dscnt 0x0
	v_add_f64_e32 v[0:1], v[6:7], v[8:9]
	v_add_f64_e64 v[2:3], v[6:7], -v[8:9]
	v_cmpx_ne_u32_e32 0, v38
	s_wait_alu 0xfffe
	s_xor_b32 s4, exec_lo, s4
	s_cbranch_execz .LBB0_17
; %bb.16:
	scratch_load_b64 v[0:1], off, off       ; 8-byte Folded Reload
	v_add_f64_e32 v[13:14], v[6:7], v[8:9]
	v_add_f64_e64 v[8:9], v[6:7], -v[8:9]
	s_wait_loadcnt 0x0
	v_add_co_u32 v0, s1, s8, v0
	s_wait_alu 0xf1ff
	v_add_co_ci_u32_e64 v1, s1, s9, v1, s1
	global_load_b128 v[2:5], v[0:1], off offset:208
	ds_load_b64 v[0:1], v10 offset:424
	ds_load_b64 v[11:12], v73 offset:8
	s_wait_dscnt 0x0
	v_add_f64_e32 v[6:7], v[0:1], v[11:12]
	v_add_f64_e64 v[0:1], v[11:12], -v[0:1]
	s_wait_loadcnt 0x0
	v_fma_f64 v[11:12], v[8:9], v[4:5], v[13:14]
	v_fma_f64 v[13:14], -v[8:9], v[4:5], v[13:14]
	s_delay_alu instid0(VALU_DEP_3) | instskip(SKIP_1) | instid1(VALU_DEP_4)
	v_fma_f64 v[15:16], v[6:7], v[4:5], -v[0:1]
	v_fma_f64 v[17:18], v[6:7], v[4:5], v[0:1]
	v_fma_f64 v[0:1], -v[6:7], v[2:3], v[11:12]
	s_delay_alu instid0(VALU_DEP_4) | instskip(NEXT) | instid1(VALU_DEP_4)
	v_fma_f64 v[4:5], v[6:7], v[2:3], v[13:14]
	v_fma_f64 v[6:7], v[8:9], v[2:3], v[15:16]
	s_delay_alu instid0(VALU_DEP_4)
	v_fma_f64 v[2:3], v[8:9], v[2:3], v[17:18]
	ds_store_b128 v10, v[4:7] offset:416
.LBB0_17:
	s_wait_alu 0xfffe
	s_and_not1_saveexec_b32 s1, s4
	s_cbranch_execz .LBB0_19
; %bb.18:
	ds_load_b128 v[4:7], v75 offset:208
	s_wait_dscnt 0x0
	v_add_f64_e32 v[4:5], v[4:5], v[4:5]
	v_mul_f64_e32 v[6:7], -2.0, v[6:7]
	ds_store_b128 v75, v[4:7] offset:208
.LBB0_19:
	s_wait_alu 0xfffe
	s_or_b32 exec_lo, exec_lo, s1
	v_mov_b32_e32 v39, 0
	s_add_nc_u64 s[4:5], s[8:9], 0xd0
	s_delay_alu instid0(VALU_DEP_1) | instskip(SKIP_1) | instid1(VALU_DEP_1)
	v_lshlrev_b64_e32 v[4:5], 4, v[38:39]
	s_wait_alu 0xfffe
	v_add_co_u32 v23, s1, s4, v4
	s_wait_alu 0xf1ff
	s_delay_alu instid0(VALU_DEP_2)
	v_add_co_ci_u32_e64 v24, s1, s5, v5, s1
	scratch_store_b64 off, v[4:5], off offset:12 ; 8-byte Folded Spill
	s_clause 0x1
	global_load_b128 v[4:7], v[23:24], off offset:32
	global_load_b128 v[11:14], v[23:24], off offset:64
	ds_store_b128 v73, v[0:3]
	ds_load_b128 v[0:3], v73 offset:32
	ds_load_b128 v[15:18], v10 offset:384
	global_load_b128 v[19:22], v[23:24], off offset:96
	s_wait_dscnt 0x0
	v_add_f64_e32 v[8:9], v[0:1], v[15:16]
	v_add_f64_e32 v[25:26], v[17:18], v[2:3]
	v_add_f64_e64 v[15:16], v[0:1], -v[15:16]
	v_add_f64_e64 v[0:1], v[2:3], -v[17:18]
	s_wait_loadcnt 0x2
	s_delay_alu instid0(VALU_DEP_2) | instskip(NEXT) | instid1(VALU_DEP_2)
	v_fma_f64 v[2:3], v[15:16], v[6:7], v[8:9]
	v_fma_f64 v[17:18], v[25:26], v[6:7], v[0:1]
	v_fma_f64 v[8:9], -v[15:16], v[6:7], v[8:9]
	v_fma_f64 v[27:28], v[25:26], v[6:7], -v[0:1]
	s_delay_alu instid0(VALU_DEP_4) | instskip(NEXT) | instid1(VALU_DEP_4)
	v_fma_f64 v[0:1], -v[25:26], v[4:5], v[2:3]
	v_fma_f64 v[2:3], v[15:16], v[4:5], v[17:18]
	s_delay_alu instid0(VALU_DEP_4) | instskip(NEXT) | instid1(VALU_DEP_4)
	v_fma_f64 v[6:7], v[25:26], v[4:5], v[8:9]
	v_fma_f64 v[8:9], v[15:16], v[4:5], v[27:28]
	ds_store_b128 v73, v[0:3] offset:32
	ds_store_b128 v10, v[6:9] offset:384
	ds_load_b128 v[0:3], v73 offset:64
	ds_load_b128 v[4:7], v10 offset:352
	global_load_b128 v[15:18], v[23:24], off offset:128
	s_wait_dscnt 0x0
	v_add_f64_e32 v[8:9], v[0:1], v[4:5]
	v_add_f64_e32 v[25:26], v[6:7], v[2:3]
	v_add_f64_e64 v[27:28], v[0:1], -v[4:5]
	v_add_f64_e64 v[0:1], v[2:3], -v[6:7]
	s_wait_loadcnt 0x2
	s_delay_alu instid0(VALU_DEP_2) | instskip(NEXT) | instid1(VALU_DEP_2)
	v_fma_f64 v[2:3], v[27:28], v[13:14], v[8:9]
	v_fma_f64 v[4:5], v[25:26], v[13:14], v[0:1]
	v_fma_f64 v[6:7], -v[27:28], v[13:14], v[8:9]
	v_fma_f64 v[8:9], v[25:26], v[13:14], -v[0:1]
	s_delay_alu instid0(VALU_DEP_4) | instskip(NEXT) | instid1(VALU_DEP_4)
	v_fma_f64 v[0:1], -v[25:26], v[11:12], v[2:3]
	v_fma_f64 v[2:3], v[27:28], v[11:12], v[4:5]
	s_delay_alu instid0(VALU_DEP_4) | instskip(NEXT) | instid1(VALU_DEP_4)
	v_fma_f64 v[4:5], v[25:26], v[11:12], v[6:7]
	v_fma_f64 v[6:7], v[27:28], v[11:12], v[8:9]
	ds_store_b128 v73, v[0:3] offset:64
	ds_store_b128 v10, v[4:7] offset:352
	;; [unrolled: 22-line block ×3, first 2 shown]
	ds_load_b128 v[0:3], v73 offset:128
	ds_load_b128 v[4:7], v10 offset:288
	s_wait_dscnt 0x0
	v_add_f64_e32 v[8:9], v[0:1], v[4:5]
	v_add_f64_e32 v[19:20], v[6:7], v[2:3]
	v_add_f64_e64 v[21:22], v[0:1], -v[4:5]
	v_add_f64_e64 v[0:1], v[2:3], -v[6:7]
	s_wait_loadcnt 0x1
	s_delay_alu instid0(VALU_DEP_2) | instskip(NEXT) | instid1(VALU_DEP_2)
	v_fma_f64 v[2:3], v[21:22], v[17:18], v[8:9]
	v_fma_f64 v[4:5], v[19:20], v[17:18], v[0:1]
	v_fma_f64 v[6:7], -v[21:22], v[17:18], v[8:9]
	v_fma_f64 v[8:9], v[19:20], v[17:18], -v[0:1]
	s_delay_alu instid0(VALU_DEP_4) | instskip(NEXT) | instid1(VALU_DEP_4)
	v_fma_f64 v[0:1], -v[19:20], v[15:16], v[2:3]
	v_fma_f64 v[2:3], v[21:22], v[15:16], v[4:5]
	s_delay_alu instid0(VALU_DEP_4) | instskip(NEXT) | instid1(VALU_DEP_4)
	v_fma_f64 v[4:5], v[19:20], v[15:16], v[6:7]
	v_fma_f64 v[6:7], v[21:22], v[15:16], v[8:9]
	ds_store_b128 v73, v[0:3] offset:128
	ds_store_b128 v10, v[4:7] offset:288
	ds_load_b128 v[0:3], v73 offset:160
	ds_load_b128 v[4:7], v10 offset:256
	s_wait_dscnt 0x0
	v_add_f64_e32 v[8:9], v[0:1], v[4:5]
	v_add_f64_e32 v[15:16], v[6:7], v[2:3]
	v_add_f64_e64 v[17:18], v[0:1], -v[4:5]
	v_add_f64_e64 v[0:1], v[2:3], -v[6:7]
	s_wait_loadcnt 0x0
	s_delay_alu instid0(VALU_DEP_2) | instskip(NEXT) | instid1(VALU_DEP_2)
	v_fma_f64 v[2:3], v[17:18], v[13:14], v[8:9]
	v_fma_f64 v[4:5], v[15:16], v[13:14], v[0:1]
	v_fma_f64 v[6:7], -v[17:18], v[13:14], v[8:9]
	v_fma_f64 v[8:9], v[15:16], v[13:14], -v[0:1]
	s_delay_alu instid0(VALU_DEP_4) | instskip(NEXT) | instid1(VALU_DEP_4)
	v_fma_f64 v[0:1], -v[15:16], v[11:12], v[2:3]
	v_fma_f64 v[2:3], v[17:18], v[11:12], v[4:5]
	s_delay_alu instid0(VALU_DEP_4) | instskip(NEXT) | instid1(VALU_DEP_4)
	v_fma_f64 v[4:5], v[15:16], v[11:12], v[6:7]
	v_fma_f64 v[6:7], v[17:18], v[11:12], v[8:9]
	ds_store_b128 v73, v[0:3] offset:160
	ds_store_b128 v10, v[4:7] offset:256
	s_and_saveexec_b32 s1, s0
	s_cbranch_execz .LBB0_21
; %bb.20:
	ds_load_b128 v[0:3], v75 offset:192
	ds_load_b128 v[4:7], v75 offset:224
	s_load_b128 s[12:15], s[8:9], 0x190
	s_wait_dscnt 0x0
	v_add_f64_e32 v[8:9], v[0:1], v[4:5]
	v_add_f64_e32 v[10:11], v[6:7], v[2:3]
	v_add_f64_e64 v[12:13], v[0:1], -v[4:5]
	v_add_f64_e64 v[0:1], v[2:3], -v[6:7]
	s_wait_kmcnt 0x0
	s_delay_alu instid0(VALU_DEP_2) | instskip(NEXT) | instid1(VALU_DEP_2)
	v_fma_f64 v[2:3], v[12:13], s[14:15], v[8:9]
	v_fma_f64 v[4:5], v[10:11], s[14:15], v[0:1]
	v_fma_f64 v[6:7], -v[12:13], s[14:15], v[8:9]
	v_fma_f64 v[8:9], v[10:11], s[14:15], -v[0:1]
	s_delay_alu instid0(VALU_DEP_4) | instskip(NEXT) | instid1(VALU_DEP_4)
	v_fma_f64 v[0:1], -v[10:11], s[12:13], v[2:3]
	v_fma_f64 v[2:3], v[12:13], s[12:13], v[4:5]
	s_delay_alu instid0(VALU_DEP_4) | instskip(NEXT) | instid1(VALU_DEP_4)
	v_fma_f64 v[4:5], v[10:11], s[12:13], v[6:7]
	v_fma_f64 v[6:7], v[12:13], s[12:13], v[8:9]
	ds_store_b128 v75, v[0:3] offset:192
	ds_store_b128 v75, v[4:7] offset:224
.LBB0_21:
	s_wait_alu 0xfffe
	s_or_b32 exec_lo, exec_lo, s1
	v_lshl_add_u32 v0, v38, 4, 0
	global_wb scope:SCOPE_SE
	s_wait_storecnt_dscnt 0x0
	s_barrier_signal -1
	s_barrier_wait -1
	global_inv scope:SCOPE_SE
	v_add_nc_u32_e32 v74, v0, v55
	global_wb scope:SCOPE_SE
	scratch_store_b32 off, v0, off offset:20 ; 4-byte Folded Spill
	s_wait_storecnt 0x0
	s_barrier_signal -1
	s_barrier_wait -1
	global_inv scope:SCOPE_SE
	ds_load_b128 v[4:7], v73
	ds_load_b128 v[24:27], v74 offset:32
	ds_load_b128 v[0:3], v74 offset:384
	ds_load_b128 v[8:11], v74 offset:352
	ds_load_b128 v[39:42], v74 offset:64
	ds_load_b128 v[76:79], v74 offset:96
	ds_load_b128 v[12:15], v74 offset:320
	ds_load_b128 v[16:19], v74 offset:288
	ds_load_b128 v[80:83], v74 offset:128
	s_mov_b32 s20, 0x42a4c3d2
	s_mov_b32 s10, 0x1ea71119
	;; [unrolled: 1-line block ×16, first 2 shown]
	s_wait_dscnt 0x7
	v_add_f64_e32 v[43:44], v[4:5], v[24:25]
	v_add_f64_e32 v[45:46], v[6:7], v[26:27]
	s_wait_dscnt 0x2
	v_add_f64_e32 v[67:68], v[76:77], v[12:13]
	v_add_f64_e64 v[65:66], v[76:77], -v[12:13]
	v_add_f64_e64 v[92:93], v[78:79], -v[14:15]
	v_add_f64_e32 v[94:95], v[78:79], v[14:15]
	v_add_f64_e64 v[84:85], v[26:27], -v[2:3]
	v_add_f64_e32 v[86:87], v[26:27], v[2:3]
	ds_load_b128 v[34:37], v74 offset:160
	ds_load_b128 v[20:23], v74 offset:256
	;; [unrolled: 1-line block ×4, first 2 shown]
	s_mov_b32 s27, 0xbfcea1e5
	s_mov_b32 s25, 0xbfd6b1d8
	;; [unrolled: 1-line block ×3, first 2 shown]
	v_add_f64_e64 v[88:89], v[41:42], -v[10:11]
	v_add_f64_e32 v[90:91], v[41:42], v[10:11]
	v_add_f64_e32 v[96:97], v[24:25], v[0:1]
	v_add_f64_e64 v[100:101], v[24:25], -v[0:1]
	s_mov_b32 s4, 0xe00740e9
	s_mov_b32 s29, 0xbfe7f3cc
	;; [unrolled: 1-line block ×6, first 2 shown]
	s_wait_alu 0xfffe
	s_mov_b32 s36, s20
	s_mov_b32 s41, 0x3fefc445
	;; [unrolled: 1-line block ×4, first 2 shown]
	s_wait_dscnt 0x2
	v_add_f64_e32 v[49:50], v[36:37], v[22:23]
	v_add_f64_e64 v[110:111], v[36:37], -v[22:23]
	s_mov_b32 s45, 0x3fe5384d
	s_mov_b32 s42, s14
	;; [unrolled: 1-line block ×3, first 2 shown]
	v_add_f64_e32 v[102:103], v[39:40], v[8:9]
	v_add_f64_e64 v[69:70], v[39:40], -v[8:9]
	s_mov_b32 s35, 0x3fddbe06
	s_mov_b32 s34, s18
	v_add_f64_e32 v[53:54], v[80:81], v[16:17]
	v_add_f64_e64 v[51:52], v[80:81], -v[16:17]
	s_mov_b32 s39, 0x3fcea1e5
	v_add_f64_e32 v[98:99], v[43:44], v[39:40]
	v_add_f64_e32 v[106:107], v[45:46], v[41:42]
	;; [unrolled: 1-line block ×3, first 2 shown]
	v_add_f64_e64 v[41:42], v[34:35], -v[20:21]
	s_mov_b32 s38, s26
	v_add_f64_e32 v[104:105], v[82:83], v[18:19]
	v_mul_f64_e32 v[114:115], s[20:21], v[84:85]
	v_mul_f64_e32 v[124:125], s[10:11], v[86:87]
	;; [unrolled: 1-line block ×20, first 2 shown]
	v_add_f64_e64 v[108:109], v[82:83], -v[18:19]
	s_wait_dscnt 0x0
	v_add_f64_e32 v[39:40], v[30:31], v[26:27]
	v_add_f64_e64 v[24:25], v[30:31], -v[26:27]
	v_mul_f64_e32 v[160:161], s[10:11], v[90:91]
	v_mul_f64_e32 v[90:91], s[4:5], v[90:91]
	v_add_f64_e32 v[45:46], v[32:33], v[28:29]
	v_add_f64_e64 v[47:48], v[32:33], -v[28:29]
	v_mul_f64_e32 v[136:137], s[26:27], v[92:93]
	v_mul_f64_e32 v[138:139], s[30:31], v[94:95]
	;; [unrolled: 1-line block ×3, first 2 shown]
	s_wait_alu 0xfffe
	v_mul_f64_e32 v[150:151], s[34:35], v[92:93]
	v_mul_f64_e32 v[152:153], s[4:5], v[94:95]
	v_add_f64_e32 v[76:77], v[98:99], v[76:77]
	v_add_f64_e32 v[78:79], v[106:107], v[78:79]
	v_mul_f64_e32 v[106:107], s[20:21], v[88:89]
	v_mul_f64_e32 v[88:89], s[34:35], v[88:89]
	;; [unrolled: 1-line block ×4, first 2 shown]
	v_fma_f64 v[200:201], v[96:97], s[10:11], v[114:115]
	v_fma_f64 v[208:209], v[100:101], s[36:37], v[124:125]
	v_fma_f64 v[114:115], v[96:97], s[10:11], -v[114:115]
	v_fma_f64 v[202:203], v[96:97], s[16:17], v[116:117]
	v_fma_f64 v[116:117], v[96:97], s[16:17], -v[116:117]
	;; [unrolled: 2-line block ×5, first 2 shown]
	v_fma_f64 v[212:213], v[100:101], s[42:43], v[128:129]
	v_fma_f64 v[214:215], v[100:101], s[44:45], v[130:131]
	v_fma_f64 v[124:125], v[100:101], s[20:21], v[124:125]
	v_fma_f64 v[128:129], v[100:101], s[14:15], v[128:129]
	v_fma_f64 v[130:131], v[100:101], s[22:23], v[130:131]
	v_fma_f64 v[216:217], v[100:101], s[38:39], v[86:87]
	v_fma_f64 v[86:87], v[100:101], s[26:27], v[86:87]
	v_fma_f64 v[218:219], v[69:70], s[42:43], v[134:135]
	v_fma_f64 v[222:223], v[102:103], s[30:31], v[140:141]
	v_fma_f64 v[224:225], v[69:70], s[38:39], v[142:143]
	v_fma_f64 v[228:229], v[102:103], s[28:29], v[146:147]
	v_fma_f64 v[230:231], v[69:70], s[22:23], v[148:149]
	v_mul_f64_e32 v[166:167], s[10:11], v[94:95]
	v_fma_f64 v[234:235], v[102:103], s[16:17], v[154:155]
	v_mul_f64_e32 v[162:163], s[12:13], v[92:93]
	v_mul_f64_e32 v[92:93], s[22:23], v[92:93]
	;; [unrolled: 1-line block ×4, first 2 shown]
	v_fma_f64 v[238:239], v[69:70], s[36:37], v[160:161]
	v_fma_f64 v[134:135], v[69:70], s[14:15], v[134:135]
	;; [unrolled: 1-line block ×3, first 2 shown]
	v_add_f64_e32 v[76:77], v[76:77], v[80:81]
	v_add_f64_e32 v[78:79], v[78:79], v[82:83]
	v_fma_f64 v[80:81], v[96:97], s[4:5], v[112:113]
	v_fma_f64 v[112:113], v[96:97], s[4:5], -v[112:113]
	v_fma_f64 v[96:97], v[100:101], s[40:41], v[126:127]
	v_fma_f64 v[82:83], v[100:101], s[34:35], v[122:123]
	;; [unrolled: 1-line block ×5, first 2 shown]
	v_add_f64_e32 v[200:201], v[4:5], v[200:201]
	v_add_f64_e32 v[208:209], v[6:7], v[208:209]
	;; [unrolled: 1-line block ×4, first 2 shown]
	v_fma_f64 v[236:237], v[102:103], s[10:11], v[106:107]
	v_fma_f64 v[106:107], v[102:103], s[10:11], -v[106:107]
	v_add_f64_e32 v[206:207], v[4:5], v[206:207]
	v_fma_f64 v[148:149], v[69:70], s[44:45], v[148:149]
	v_add_f64_e32 v[212:213], v[6:7], v[212:213]
	v_add_f64_e32 v[214:215], v[6:7], v[214:215]
	;; [unrolled: 1-line block ×9, first 2 shown]
	v_mul_f64_e32 v[168:169], s[14:15], v[108:109]
	v_mul_f64_e32 v[170:171], s[44:45], v[108:109]
	;; [unrolled: 1-line block ×3, first 2 shown]
	v_fma_f64 v[220:221], v[67:68], s[30:31], v[136:137]
	v_fma_f64 v[244:245], v[65:66], s[38:39], v[138:139]
	v_mul_f64_e32 v[172:173], s[34:35], v[108:109]
	v_mul_f64_e32 v[182:183], s[4:5], v[104:105]
	;; [unrolled: 1-line block ×4, first 2 shown]
	v_fma_f64 v[226:227], v[67:68], s[24:25], v[144:145]
	v_fma_f64 v[246:247], v[65:66], s[14:15], v[98:99]
	v_mul_f64_e32 v[174:175], s[12:13], v[108:109]
	v_add_f64_e32 v[34:35], v[76:77], v[34:35]
	v_add_f64_e32 v[36:37], v[78:79], v[36:37]
	v_fma_f64 v[76:77], v[102:103], s[24:25], -v[132:133]
	v_fma_f64 v[132:133], v[102:103], s[30:31], -v[140:141]
	v_add_f64_e32 v[96:97], v[6:7], v[96:97]
	v_fma_f64 v[140:141], v[102:103], s[28:29], -v[146:147]
	v_fma_f64 v[146:147], v[102:103], s[16:17], -v[154:155]
	v_fma_f64 v[154:155], v[102:103], s[4:5], v[88:89]
	v_fma_f64 v[88:89], v[102:103], s[4:5], -v[88:89]
	v_fma_f64 v[102:103], v[69:70], s[12:13], v[156:157]
	v_fma_f64 v[78:79], v[69:70], s[20:21], v[160:161]
	v_fma_f64 v[156:157], v[69:70], s[40:41], v[156:157]
	v_fma_f64 v[160:161], v[69:70], s[18:19], v[90:91]
	v_fma_f64 v[69:70], v[69:70], s[34:35], v[90:91]
	v_add_f64_e32 v[82:83], v[6:7], v[82:83]
	v_add_f64_e32 v[122:123], v[6:7], v[122:123]
	;; [unrolled: 1-line block ×8, first 2 shown]
	v_mul_f64_e32 v[184:185], s[16:17], v[104:105]
	v_mul_f64_e32 v[192:193], s[20:21], v[110:111]
	;; [unrolled: 1-line block ×3, first 2 shown]
	v_fma_f64 v[232:233], v[67:68], s[4:5], v[150:151]
	v_fma_f64 v[248:249], v[65:66], s[18:19], v[152:153]
	v_add_f64_e32 v[204:205], v[228:229], v[204:205]
	v_add_f64_e32 v[212:213], v[230:231], v[212:213]
	v_mul_f64_e32 v[176:177], s[38:39], v[108:109]
	v_mul_f64_e32 v[186:187], s[30:31], v[104:105]
	v_fma_f64 v[90:91], v[67:68], s[10:11], v[158:159]
	v_fma_f64 v[250:251], v[65:66], s[36:37], v[166:167]
	v_add_f64_e32 v[206:207], v[234:235], v[206:207]
	v_mul_f64_e32 v[108:109], s[36:37], v[108:109]
	v_mul_f64_e32 v[178:179], s[24:25], v[104:105]
	;; [unrolled: 1-line block ×3, first 2 shown]
	v_fma_f64 v[240:241], v[67:68], s[16:17], v[162:163]
	v_add_f64_e32 v[30:31], v[34:35], v[30:31]
	v_add_f64_e32 v[32:33], v[36:37], v[32:33]
	v_fma_f64 v[162:163], v[67:68], s[16:17], -v[162:163]
	v_fma_f64 v[136:137], v[67:68], s[30:31], -v[136:137]
	v_add_f64_e32 v[96:97], v[224:225], v[96:97]
	v_fma_f64 v[144:145], v[67:68], s[24:25], -v[144:145]
	v_fma_f64 v[150:151], v[67:68], s[4:5], -v[150:151]
	v_fma_f64 v[158:159], v[67:68], s[10:11], -v[158:159]
	v_fma_f64 v[242:243], v[67:68], s[28:29], v[92:93]
	v_add_f64_e32 v[102:103], v[102:103], v[214:215]
	v_fma_f64 v[67:68], v[67:68], s[28:29], -v[92:93]
	v_fma_f64 v[92:93], v[65:66], s[40:41], v[164:165]
	v_fma_f64 v[164:165], v[65:66], s[12:13], v[164:165]
	;; [unrolled: 1-line block ×8, first 2 shown]
	v_add_f64_e32 v[126:127], v[142:143], v[126:127]
	v_add_f64_e32 v[128:129], v[148:149], v[128:129]
	;; [unrolled: 1-line block ×10, first 2 shown]
	v_mul_f64_e32 v[196:197], s[34:35], v[110:111]
	v_mul_f64_e32 v[110:111], s[14:15], v[110:111]
	;; [unrolled: 1-line block ×3, first 2 shown]
	v_fma_f64 v[34:35], v[53:54], s[24:25], v[168:169]
	v_fma_f64 v[94:95], v[53:54], s[24:25], -v[168:169]
	v_fma_f64 v[168:169], v[53:54], s[28:29], v[170:171]
	v_fma_f64 v[71:72], v[51:52], s[22:23], v[180:181]
	v_add_f64_e32 v[100:101], v[220:221], v[100:101]
	v_fma_f64 v[254:255], v[53:54], s[4:5], v[172:173]
	v_add_f64_e32 v[26:27], v[30:31], v[26:27]
	v_add_f64_e32 v[30:31], v[4:5], v[210:211]
	;; [unrolled: 1-line block ×6, first 2 shown]
	v_fma_f64 v[84:85], v[51:52], s[18:19], v[182:183]
	v_mul_f64_e32 v[218:219], s[10:11], v[49:50]
	v_fma_f64 v[142:143], v[43:44], s[28:29], -v[188:189]
	v_fma_f64 v[140:141], v[43:44], s[16:17], v[190:191]
	v_add_f64_e32 v[96:97], v[246:247], v[96:97]
	v_fma_f64 v[61:62], v[53:54], s[16:17], v[174:175]
	v_fma_f64 v[86:87], v[51:52], s[34:35], v[182:183]
	v_fma_f64 v[182:183], v[51:52], s[40:41], v[184:185]
	v_mul_f64_e32 v[228:229], s[30:31], v[49:50]
	v_fma_f64 v[148:149], v[43:44], s[30:31], v[194:195]
	v_fma_f64 v[36:37], v[53:54], s[30:31], v[176:177]
	;; [unrolled: 1-line block ×3, first 2 shown]
	v_mul_f64_e32 v[230:231], s[4:5], v[49:50]
	v_add_f64_e32 v[90:91], v[90:91], v[206:207]
	v_add_f64_e32 v[102:103], v[250:251], v[102:103]
	v_fma_f64 v[170:171], v[53:54], s[28:29], -v[170:171]
	v_fma_f64 v[172:173], v[53:54], s[4:5], -v[172:173]
	;; [unrolled: 1-line block ×4, first 2 shown]
	v_fma_f64 v[63:64], v[53:54], s[10:11], v[108:109]
	v_fma_f64 v[53:54], v[53:54], s[10:11], -v[108:109]
	v_fma_f64 v[108:109], v[51:52], s[42:43], v[178:179]
	v_fma_f64 v[178:179], v[51:52], s[14:15], v[178:179]
	;; [unrolled: 1-line block ×7, first 2 shown]
	v_mul_f64_e32 v[236:237], s[28:29], v[49:50]
	v_mul_f64_e32 v[49:50], s[24:25], v[49:50]
	v_add_f64_e32 v[98:99], v[98:99], v[126:127]
	v_add_f64_e32 v[126:127], v[152:153], v[128:129]
	;; [unrolled: 1-line block ×11, first 2 shown]
	v_fma_f64 v[132:133], v[43:44], s[28:29], v[188:189]
	v_fma_f64 v[188:189], v[43:44], s[16:17], -v[190:191]
	v_add_f64_e32 v[190:191], v[226:227], v[202:203]
	v_fma_f64 v[69:70], v[43:44], s[10:11], v[192:193]
	v_fma_f64 v[88:89], v[43:44], s[10:11], -v[192:193]
	v_fma_f64 v[154:155], v[43:44], s[30:31], -v[194:195]
	v_add_f64_e32 v[192:193], v[232:233], v[204:205]
	v_add_f64_e32 v[194:195], v[248:249], v[212:213]
	;; [unrolled: 1-line block ×10, first 2 shown]
	v_mul_f64_e32 v[104:105], s[34:35], v[47:48]
	v_mul_f64_e32 v[200:201], s[4:5], v[45:46]
	v_fma_f64 v[156:157], v[43:44], s[4:5], v[196:197]
	v_fma_f64 v[160:161], v[43:44], s[4:5], -v[196:197]
	v_fma_f64 v[134:135], v[43:44], s[24:25], v[110:111]
	v_add_f64_e32 v[92:93], v[168:169], v[100:101]
	v_mul_f64_e32 v[222:223], s[22:23], v[47:48]
	v_mul_f64_e32 v[224:225], s[28:29], v[45:46]
	v_fma_f64 v[202:203], v[41:42], s[36:37], v[218:219]
	v_mul_f64_e32 v[234:235], s[36:37], v[47:48]
	v_mul_f64_e32 v[214:215], s[10:11], v[45:46]
	;; [unrolled: 1-line block ×4, first 2 shown]
	v_add_f64_e32 v[16:17], v[20:21], v[16:17]
	v_add_f64_e32 v[30:31], v[242:243], v[30:31]
	v_add_f64_e32 v[130:131], v[252:253], v[146:147]
	v_add_f64_e32 v[6:7], v[65:66], v[6:7]
	v_add_f64_e32 v[26:27], v[136:137], v[26:27]
	v_add_f64_e32 v[114:115], v[144:145], v[114:115]
	v_add_f64_e32 v[4:5], v[67:68], v[4:5]
	v_add_f64_e32 v[18:19], v[22:23], v[18:19]
	v_fma_f64 v[20:21], v[43:44], s[24:25], -v[110:111]
	v_fma_f64 v[43:44], v[41:42], s[12:13], v[198:199]
	v_add_f64_e32 v[22:23], v[71:72], v[28:29]
	v_add_f64_e32 v[28:29], v[254:255], v[190:191]
	;; [unrolled: 1-line block ×3, first 2 shown]
	v_fma_f64 v[136:137], v[41:42], s[26:27], v[228:229]
	v_fma_f64 v[144:145], v[41:42], s[18:19], v[230:231]
	v_add_f64_e32 v[61:62], v[61:62], v[192:193]
	v_add_f64_e32 v[84:85], v[182:183], v[194:195]
	;; [unrolled: 1-line block ×4, first 2 shown]
	v_mul_f64_e32 v[76:77], s[26:27], v[47:48]
	v_mul_f64_e32 v[47:48], s[40:41], v[47:48]
	;; [unrolled: 1-line block ×3, first 2 shown]
	v_fma_f64 v[100:101], v[41:42], s[42:43], v[49:50]
	v_fma_f64 v[49:50], v[41:42], s[14:15], v[49:50]
	;; [unrolled: 1-line block ×3, first 2 shown]
	v_add_f64_e32 v[34:35], v[34:35], v[80:81]
	v_add_f64_e32 v[80:81], v[94:95], v[106:107]
	v_fma_f64 v[90:91], v[41:42], s[38:39], v[228:229]
	v_add_f64_e32 v[102:103], v[184:185], v[126:127]
	v_add_f64_e32 v[106:107], v[176:177], v[120:121]
	;; [unrolled: 1-line block ×4, first 2 shown]
	v_fma_f64 v[138:139], v[41:42], s[22:23], v[236:237]
	v_fma_f64 v[118:119], v[41:42], s[44:45], v[236:237]
	v_add_f64_e32 v[124:125], v[180:181], v[124:125]
	v_mul_f64_e32 v[45:46], s[30:31], v[45:46]
	v_add_f64_e32 v[78:79], v[178:179], v[78:79]
	v_add_f64_e32 v[82:83], v[108:109], v[82:83]
	;; [unrolled: 1-line block ×6, first 2 shown]
	v_fma_f64 v[16:17], v[41:42], s[20:21], v[218:219]
	v_add_f64_e32 v[94:95], v[172:173], v[114:115]
	v_add_f64_e32 v[114:115], v[186:187], v[128:129]
	;; [unrolled: 1-line block ×4, first 2 shown]
	v_fma_f64 v[41:42], v[41:42], s[40:41], v[198:199]
	v_add_f64_e32 v[14:15], v[18:19], v[14:15]
	v_fma_f64 v[110:111], v[39:40], s[4:5], v[104:105]
	v_fma_f64 v[196:197], v[24:25], s[18:19], v[200:201]
	v_add_f64_e32 v[92:93], v[140:141], v[92:93]
	v_add_f64_e32 v[18:19], v[43:44], v[22:23]
	v_fma_f64 v[65:66], v[39:40], s[28:29], v[222:223]
	v_fma_f64 v[67:68], v[24:25], s[44:45], v[224:225]
	v_add_f64_e32 v[22:23], v[69:70], v[28:29]
	;; [unrolled: 4-line block ×4, first 2 shown]
	v_add_f64_e32 v[32:33], v[144:145], v[32:33]
	v_fma_f64 v[108:109], v[39:40], s[24:25], -v[112:113]
	v_fma_f64 v[112:113], v[39:40], s[16:17], v[47:48]
	v_fma_f64 v[120:121], v[39:40], s[30:31], v[76:77]
	v_fma_f64 v[76:77], v[39:40], s[30:31], -v[76:77]
	v_fma_f64 v[104:105], v[39:40], s[4:5], -v[104:105]
	;; [unrolled: 1-line block ×5, first 2 shown]
	v_add_f64_e32 v[126:127], v[132:133], v[34:35]
	v_add_f64_e32 v[34:35], v[142:143], v[80:81]
	;; [unrolled: 1-line block ×7, first 2 shown]
	v_fma_f64 v[49:50], v[24:25], s[12:13], v[116:117]
	v_add_f64_e32 v[39:40], v[88:89], v[94:95]
	v_add_f64_e32 v[94:95], v[96:97], v[114:115]
	;; [unrolled: 1-line block ×3, first 2 shown]
	v_fma_f64 v[100:101], v[24:25], s[40:41], v[116:117]
	v_add_f64_e32 v[88:89], v[90:91], v[102:103]
	v_add_f64_e32 v[90:91], v[160:161], v[106:107]
	v_fma_f64 v[102:103], v[24:25], s[14:15], v[122:123]
	v_add_f64_e32 v[80:81], v[16:17], v[86:87]
	v_add_f64_e32 v[86:87], v[154:155], v[98:99]
	v_fma_f64 v[106:107], v[24:25], s[36:37], v[214:215]
	v_fma_f64 v[114:115], v[24:25], s[22:23], v[224:225]
	v_add_f64_e32 v[26:27], v[188:189], v[26:27]
	v_fma_f64 v[98:99], v[24:25], s[34:35], v[200:201]
	v_add_f64_e32 v[116:117], v[41:42], v[124:125]
	v_fma_f64 v[122:123], v[24:25], s[26:27], v[45:46]
	v_fma_f64 v[118:119], v[24:25], s[38:39], v[45:46]
	v_add_f64_e32 v[69:70], v[12:13], v[8:9]
	v_add_f64_e32 v[124:125], v[14:15], v[10:11]
	;; [unrolled: 1-line block ×5, first 2 shown]
	v_mov_b32_e32 v65, 0
	v_add_f64_e32 v[14:15], v[67:68], v[28:29]
	v_add_f64_e32 v[16:17], v[146:147], v[43:44]
	;; [unrolled: 1-line block ×5, first 2 shown]
	v_mul_u32_u24_e32 v36, 0xd0, v38
	global_wb scope:SCOPE_SE
	s_barrier_signal -1
	v_add_f64_e32 v[51:52], v[120:121], v[126:127]
	v_add_f64_e32 v[4:5], v[76:77], v[34:35]
	v_add3_u32 v36, 0, v36, v55
	s_barrier_wait -1
	v_add_f64_e32 v[43:44], v[112:113], v[30:31]
	global_inv scope:SCOPE_SE
	v_mov_b32_e32 v66, 0
	v_add_f64_e32 v[45:46], v[49:50], v[63:64]
	v_add_f64_e32 v[28:29], v[71:72], v[39:40]
	v_add_f64_e32 v[47:48], v[47:48], v[96:97]
	v_add_f64_e32 v[49:50], v[100:101], v[6:7]
	v_add_f64_e32 v[39:40], v[108:109], v[90:91]
	v_add_f64_e32 v[41:42], v[102:103], v[94:95]
	v_add_f64_e32 v[32:33], v[84:85], v[86:87]
	v_add_f64_e32 v[34:35], v[106:107], v[88:89]
	v_add_f64_e32 v[30:31], v[114:115], v[80:81]
	v_add_f64_e32 v[24:25], v[104:105], v[26:27]
	v_add_f64_e32 v[26:27], v[98:99], v[116:117]
	v_add_f64_e32 v[6:7], v[122:123], v[78:79]
	v_add_f64_e32 v[53:54], v[118:119], v[82:83]
	v_add_f64_e32 v[0:1], v[69:70], v[0:1]
	v_add_f64_e32 v[2:3], v[124:125], v[2:3]
	ds_store_b128 v36, v[8:11] offset:32
	ds_store_b128 v36, v[12:15] offset:48
	;; [unrolled: 1-line block ×12, first 2 shown]
	ds_store_b128 v36, v[0:3]
	global_wb scope:SCOPE_SE
	s_wait_dscnt 0x0
	s_barrier_signal -1
	s_barrier_wait -1
	global_inv scope:SCOPE_SE
	ds_load_b128 v[12:15], v73
	ds_load_b128 v[16:19], v74 offset:32
	ds_load_b128 v[32:35], v74 offset:208
	ds_load_b128 v[36:39], v74 offset:240
	ds_load_b128 v[20:23], v74 offset:64
	ds_load_b128 v[24:27], v74 offset:96
	ds_load_b128 v[44:47], v74 offset:272
	ds_load_b128 v[40:43], v74 offset:304
	ds_load_b128 v[28:31], v74 offset:128
	ds_load_b128 v[8:11], v74 offset:160
	ds_load_b128 v[52:55], v74 offset:336
	ds_load_b128 v[48:51], v74 offset:368
                                        ; implicit-def: $vgpr2_vgpr3
	s_and_saveexec_b32 s1, s0
	s_cbranch_execz .LBB0_23
; %bb.22:
	ds_load_b128 v[4:7], v75 offset:192
	ds_load_b128 v[0:3], v75 offset:400
	v_mov_b32_e32 v65, 12
	v_mov_b32_e32 v66, 0
.LBB0_23:
	s_wait_alu 0xfffe
	s_or_b32 exec_lo, exec_lo, s1
	s_clause 0x1
	scratch_load_b64 v[61:62], off, off th:TH_LOAD_LU
	scratch_load_b64 v[63:64], off, off offset:12 th:TH_LOAD_LU
	s_wait_loadcnt 0x1
	v_add_co_u32 v61, s1, s8, v61
	s_wait_alu 0xf1ff
	v_add_co_ci_u32_e64 v62, s1, s9, v62, s1
	s_wait_loadcnt 0x0
	v_add_co_u32 v70, s1, s8, v63
	s_wait_alu 0xf1ff
	v_add_co_ci_u32_e64 v71, s1, s9, v64, s1
	s_clause 0x5
	global_load_b128 v[61:64], v[61:62], off
	global_load_b128 v[66:69], v[70:71], off offset:32
	global_load_b128 v[76:79], v[70:71], off offset:64
	;; [unrolled: 1-line block ×5, first 2 shown]
	s_wait_loadcnt_dscnt 0x509
	v_mul_f64_e32 v[70:71], v[34:35], v[63:64]
	v_mul_f64_e32 v[63:64], v[32:33], v[63:64]
	s_wait_loadcnt_dscnt 0x305
	v_mul_f64_e32 v[92:93], v[46:47], v[78:79]
	s_wait_loadcnt_dscnt 0x204
	v_mul_f64_e32 v[94:95], v[42:43], v[82:83]
	v_mul_f64_e32 v[78:79], v[44:45], v[78:79]
	;; [unrolled: 1-line block ×5, first 2 shown]
	s_wait_loadcnt_dscnt 0x101
	v_mul_f64_e32 v[96:97], v[54:55], v[86:87]
	v_mul_f64_e32 v[86:87], v[52:53], v[86:87]
	s_wait_loadcnt_dscnt 0x0
	v_mul_f64_e32 v[98:99], v[50:51], v[90:91]
	v_mul_f64_e32 v[90:91], v[48:49], v[90:91]
	v_fma_f64 v[32:33], v[32:33], v[61:62], v[70:71]
	v_fma_f64 v[34:35], v[34:35], v[61:62], -v[63:64]
	v_fma_f64 v[44:45], v[44:45], v[76:77], v[92:93]
	v_fma_f64 v[61:62], v[40:41], v[80:81], v[94:95]
	v_fma_f64 v[46:47], v[46:47], v[76:77], -v[78:79]
	v_fma_f64 v[63:64], v[42:43], v[80:81], -v[82:83]
	v_fma_f64 v[36:37], v[36:37], v[66:67], v[72:73]
	v_fma_f64 v[38:39], v[38:39], v[66:67], -v[68:69]
	v_fma_f64 v[52:53], v[52:53], v[84:85], v[96:97]
	;; [unrolled: 2-line block ×3, first 2 shown]
	v_fma_f64 v[68:69], v[50:51], v[88:89], -v[90:91]
	v_add_f64_e64 v[32:33], v[12:13], -v[32:33]
	v_add_f64_e64 v[34:35], v[14:15], -v[34:35]
	;; [unrolled: 1-line block ×4, first 2 shown]
	s_clause 0x1
	scratch_load_b32 v61, off, off offset:8 th:TH_LOAD_LU
	scratch_load_b32 v62, off, off offset:20 th:TH_LOAD_LU
	v_add_f64_e64 v[42:43], v[22:23], -v[46:47]
	v_add_f64_e64 v[36:37], v[16:17], -v[36:37]
	;; [unrolled: 1-line block ×8, first 2 shown]
	global_wb scope:SCOPE_SE
	s_wait_loadcnt 0x0
	s_barrier_signal -1
	s_barrier_wait -1
	global_inv scope:SCOPE_SE
	v_fma_f64 v[12:13], v[12:13], 2.0, -v[32:33]
	v_fma_f64 v[14:15], v[14:15], 2.0, -v[34:35]
	;; [unrolled: 1-line block ×12, first 2 shown]
	v_lshl_add_u32 v61, v61, 4, v62
	ds_store_b128 v74, v[32:35] offset:208
	ds_store_b128 v61, v[36:39] offset:240
	;; [unrolled: 1-line block ×4, first 2 shown]
	ds_store_b128 v74, v[12:15]
	ds_store_b128 v74, v[16:19] offset:32
	ds_store_b128 v74, v[20:23] offset:64
	;; [unrolled: 1-line block ×7, first 2 shown]
	s_and_saveexec_b32 s1, s0
	s_cbranch_execz .LBB0_25
; %bb.24:
	v_lshlrev_b32_e32 v8, 4, v65
	global_load_b128 v[8:11], v8, s[8:9]
	s_wait_loadcnt 0x0
	v_mul_f64_e32 v[12:13], v[0:1], v[10:11]
	v_mul_f64_e32 v[10:11], v[2:3], v[10:11]
	s_delay_alu instid0(VALU_DEP_2) | instskip(NEXT) | instid1(VALU_DEP_2)
	v_fma_f64 v[2:3], v[2:3], v[8:9], -v[12:13]
	v_fma_f64 v[0:1], v[0:1], v[8:9], v[10:11]
	s_delay_alu instid0(VALU_DEP_2) | instskip(NEXT) | instid1(VALU_DEP_2)
	v_add_f64_e64 v[2:3], v[6:7], -v[2:3]
	v_add_f64_e64 v[0:1], v[4:5], -v[0:1]
	s_delay_alu instid0(VALU_DEP_2) | instskip(NEXT) | instid1(VALU_DEP_2)
	v_fma_f64 v[6:7], v[6:7], 2.0, -v[2:3]
	v_fma_f64 v[4:5], v[4:5], 2.0, -v[0:1]
	ds_store_b128 v75, v[4:7] offset:192
	ds_store_b128 v75, v[0:3] offset:400
.LBB0_25:
	s_wait_alu 0xfffe
	s_or_b32 exec_lo, exec_lo, s1
	global_wb scope:SCOPE_SE
	s_wait_dscnt 0x0
	s_barrier_signal -1
	s_barrier_wait -1
	global_inv scope:SCOPE_SE
	s_and_saveexec_b32 s0, vcc_lo
	s_cbranch_execz .LBB0_27
; %bb.26:
	v_mul_lo_u32 v2, s3, v58
	v_mul_lo_u32 v3, s2, v59
	v_mad_co_u64_u32 v[0:1], null, s2, v58, 0
	v_dual_mov_b32 v61, 0 :: v_dual_add_nc_u32 v10, 2, v60
	v_lshlrev_b64_e32 v[8:9], 4, v[56:57]
	v_lshl_add_u32 v28, v60, 4, v75
	s_delay_alu instid0(VALU_DEP_3) | instskip(SKIP_4) | instid1(VALU_DEP_4)
	v_dual_mov_b32 v11, v61 :: v_dual_add_nc_u32 v12, 4, v60
	v_add3_u32 v1, v1, v3, v2
	v_lshlrev_b64_e32 v[14:15], 4, v[60:61]
	v_dual_mov_b32 v13, v61 :: v_dual_add_nc_u32 v22, 6, v60
	v_dual_mov_b32 v23, v61 :: v_dual_add_nc_u32 v24, 8, v60
	v_lshlrev_b64_e32 v[16:17], 4, v[0:1]
	ds_load_b128 v[0:3], v28
	ds_load_b128 v[4:7], v28 offset:32
	v_mov_b32_e32 v25, v61
	v_lshlrev_b64_e32 v[22:23], 4, v[22:23]
	v_dual_mov_b32 v27, v61 :: v_dual_add_nc_u32 v26, 18, v60
	v_add_co_u32 v18, vcc_lo, s6, v16
	s_wait_alu 0xfffd
	v_add_co_ci_u32_e32 v19, vcc_lo, s7, v17, vcc_lo
	v_lshlrev_b64_e32 v[16:17], 4, v[10:11]
	s_delay_alu instid0(VALU_DEP_3) | instskip(SKIP_1) | instid1(VALU_DEP_3)
	v_add_co_u32 v30, vcc_lo, v18, v8
	s_wait_alu 0xfffd
	v_add_co_ci_u32_e32 v31, vcc_lo, v19, v9, vcc_lo
	v_lshlrev_b64_e32 v[18:19], 4, v[12:13]
	s_delay_alu instid0(VALU_DEP_3) | instskip(SKIP_1) | instid1(VALU_DEP_3)
	v_add_co_u32 v20, vcc_lo, v30, v14
	s_wait_alu 0xfffd
	v_add_co_ci_u32_e32 v21, vcc_lo, v31, v15, vcc_lo
	ds_load_b128 v[8:11], v28 offset:64
	ds_load_b128 v[12:15], v28 offset:96
	v_add_co_u32 v16, vcc_lo, v30, v16
	s_wait_alu 0xfffd
	v_add_co_ci_u32_e32 v17, vcc_lo, v31, v17, vcc_lo
	v_add_co_u32 v18, vcc_lo, v30, v18
	s_wait_alu 0xfffd
	v_add_co_ci_u32_e32 v19, vcc_lo, v31, v19, vcc_lo
	;; [unrolled: 3-line block ×3, first 2 shown]
	s_wait_dscnt 0x3
	global_store_b128 v[20:21], v[0:3], off
	s_wait_dscnt 0x2
	global_store_b128 v[16:17], v[4:7], off
	;; [unrolled: 2-line block ×4, first 2 shown]
	v_add_nc_u32_e32 v8, 10, v60
	v_lshlrev_b64_e32 v[0:1], 4, v[24:25]
	v_dual_mov_b32 v9, v61 :: v_dual_add_nc_u32 v10, 12, v60
	v_dual_mov_b32 v11, v61 :: v_dual_add_nc_u32 v22, 14, v60
	;; [unrolled: 1-line block ×3, first 2 shown]
	s_delay_alu instid0(VALU_DEP_4)
	v_add_co_u32 v16, vcc_lo, v30, v0
	s_wait_alu 0xfffd
	v_add_co_ci_u32_e32 v17, vcc_lo, v31, v1, vcc_lo
	ds_load_b128 v[0:3], v28 offset:128
	ds_load_b128 v[4:7], v28 offset:160
	v_lshlrev_b64_e32 v[18:19], 4, v[8:9]
	v_lshlrev_b64_e32 v[20:21], 4, v[10:11]
	ds_load_b128 v[8:11], v28 offset:192
	ds_load_b128 v[12:15], v28 offset:224
	v_lshlrev_b64_e32 v[22:23], 4, v[22:23]
	v_lshlrev_b64_e32 v[24:25], 4, v[24:25]
	v_add_co_u32 v18, vcc_lo, v30, v18
	s_wait_alu 0xfffd
	v_add_co_ci_u32_e32 v19, vcc_lo, v31, v19, vcc_lo
	v_add_co_u32 v20, vcc_lo, v30, v20
	s_wait_alu 0xfffd
	v_add_co_ci_u32_e32 v21, vcc_lo, v31, v21, vcc_lo
	;; [unrolled: 3-line block ×3, first 2 shown]
	s_wait_dscnt 0x3
	global_store_b128 v[16:17], v[0:3], off
	s_wait_dscnt 0x2
	global_store_b128 v[18:19], v[4:7], off
	;; [unrolled: 2-line block ×4, first 2 shown]
	v_lshlrev_b64_e32 v[0:1], 4, v[26:27]
	v_add_co_u32 v20, vcc_lo, v30, v24
	v_dual_mov_b32 v9, v61 :: v_dual_add_nc_u32 v8, 20, v60
	s_wait_alu 0xfffd
	v_add_co_ci_u32_e32 v21, vcc_lo, v31, v25, vcc_lo
	s_delay_alu instid0(VALU_DEP_4)
	v_add_co_u32 v22, vcc_lo, v30, v0
	s_wait_alu 0xfffd
	v_add_co_ci_u32_e32 v23, vcc_lo, v31, v1, vcc_lo
	ds_load_b128 v[0:3], v28 offset:256
	ds_load_b128 v[4:7], v28 offset:288
	v_lshlrev_b64_e32 v[26:27], 4, v[8:9]
	ds_load_b128 v[8:11], v28 offset:320
	ds_load_b128 v[12:15], v28 offset:352
	;; [unrolled: 1-line block ×3, first 2 shown]
	v_dual_mov_b32 v25, v61 :: v_dual_add_nc_u32 v24, 22, v60
	v_add_nc_u32_e32 v60, 24, v60
	v_add_co_u32 v26, vcc_lo, v30, v26
	s_delay_alu instid0(VALU_DEP_3) | instskip(NEXT) | instid1(VALU_DEP_3)
	v_lshlrev_b64_e32 v[24:25], 4, v[24:25]
	v_lshlrev_b64_e32 v[28:29], 4, v[60:61]
	s_wait_alu 0xfffd
	v_add_co_ci_u32_e32 v27, vcc_lo, v31, v27, vcc_lo
	s_delay_alu instid0(VALU_DEP_3)
	v_add_co_u32 v24, vcc_lo, v30, v24
	s_wait_alu 0xfffd
	v_add_co_ci_u32_e32 v25, vcc_lo, v31, v25, vcc_lo
	v_add_co_u32 v28, vcc_lo, v30, v28
	s_wait_alu 0xfffd
	v_add_co_ci_u32_e32 v29, vcc_lo, v31, v29, vcc_lo
	s_wait_dscnt 0x4
	global_store_b128 v[20:21], v[0:3], off
	s_wait_dscnt 0x3
	global_store_b128 v[22:23], v[4:7], off
	;; [unrolled: 2-line block ×5, first 2 shown]
.LBB0_27:
	s_nop 0
	s_sendmsg sendmsg(MSG_DEALLOC_VGPRS)
	s_endpgm
	.section	.rodata,"a",@progbits
	.p2align	6, 0x0
	.amdhsa_kernel fft_rtc_back_len26_factors_13_2_wgs_64_tpt_2_halfLds_dp_op_CI_CI_unitstride_sbrr_C2R_dirReg
		.amdhsa_group_segment_fixed_size 0
		.amdhsa_private_segment_fixed_size 28
		.amdhsa_kernarg_size 104
		.amdhsa_user_sgpr_count 2
		.amdhsa_user_sgpr_dispatch_ptr 0
		.amdhsa_user_sgpr_queue_ptr 0
		.amdhsa_user_sgpr_kernarg_segment_ptr 1
		.amdhsa_user_sgpr_dispatch_id 0
		.amdhsa_user_sgpr_private_segment_size 0
		.amdhsa_wavefront_size32 1
		.amdhsa_uses_dynamic_stack 0
		.amdhsa_enable_private_segment 1
		.amdhsa_system_sgpr_workgroup_id_x 1
		.amdhsa_system_sgpr_workgroup_id_y 0
		.amdhsa_system_sgpr_workgroup_id_z 0
		.amdhsa_system_sgpr_workgroup_info 0
		.amdhsa_system_vgpr_workitem_id 0
		.amdhsa_next_free_vgpr 256
		.amdhsa_next_free_sgpr 46
		.amdhsa_reserve_vcc 1
		.amdhsa_float_round_mode_32 0
		.amdhsa_float_round_mode_16_64 0
		.amdhsa_float_denorm_mode_32 3
		.amdhsa_float_denorm_mode_16_64 3
		.amdhsa_fp16_overflow 0
		.amdhsa_workgroup_processor_mode 1
		.amdhsa_memory_ordered 1
		.amdhsa_forward_progress 0
		.amdhsa_round_robin_scheduling 0
		.amdhsa_exception_fp_ieee_invalid_op 0
		.amdhsa_exception_fp_denorm_src 0
		.amdhsa_exception_fp_ieee_div_zero 0
		.amdhsa_exception_fp_ieee_overflow 0
		.amdhsa_exception_fp_ieee_underflow 0
		.amdhsa_exception_fp_ieee_inexact 0
		.amdhsa_exception_int_div_zero 0
	.end_amdhsa_kernel
	.text
.Lfunc_end0:
	.size	fft_rtc_back_len26_factors_13_2_wgs_64_tpt_2_halfLds_dp_op_CI_CI_unitstride_sbrr_C2R_dirReg, .Lfunc_end0-fft_rtc_back_len26_factors_13_2_wgs_64_tpt_2_halfLds_dp_op_CI_CI_unitstride_sbrr_C2R_dirReg
                                        ; -- End function
	.section	.AMDGPU.csdata,"",@progbits
; Kernel info:
; codeLenInByte = 7964
; NumSgprs: 48
; NumVgprs: 256
; ScratchSize: 28
; MemoryBound: 0
; FloatMode: 240
; IeeeMode: 1
; LDSByteSize: 0 bytes/workgroup (compile time only)
; SGPRBlocks: 5
; VGPRBlocks: 31
; NumSGPRsForWavesPerEU: 48
; NumVGPRsForWavesPerEU: 256
; Occupancy: 5
; WaveLimiterHint : 1
; COMPUTE_PGM_RSRC2:SCRATCH_EN: 1
; COMPUTE_PGM_RSRC2:USER_SGPR: 2
; COMPUTE_PGM_RSRC2:TRAP_HANDLER: 0
; COMPUTE_PGM_RSRC2:TGID_X_EN: 1
; COMPUTE_PGM_RSRC2:TGID_Y_EN: 0
; COMPUTE_PGM_RSRC2:TGID_Z_EN: 0
; COMPUTE_PGM_RSRC2:TIDIG_COMP_CNT: 0
	.text
	.p2alignl 7, 3214868480
	.fill 96, 4, 3214868480
	.type	__hip_cuid_b0ab1b37286a6e8b,@object ; @__hip_cuid_b0ab1b37286a6e8b
	.section	.bss,"aw",@nobits
	.globl	__hip_cuid_b0ab1b37286a6e8b
__hip_cuid_b0ab1b37286a6e8b:
	.byte	0                               ; 0x0
	.size	__hip_cuid_b0ab1b37286a6e8b, 1

	.ident	"AMD clang version 19.0.0git (https://github.com/RadeonOpenCompute/llvm-project roc-6.4.0 25133 c7fe45cf4b819c5991fe208aaa96edf142730f1d)"
	.section	".note.GNU-stack","",@progbits
	.addrsig
	.addrsig_sym __hip_cuid_b0ab1b37286a6e8b
	.amdgpu_metadata
---
amdhsa.kernels:
  - .args:
      - .actual_access:  read_only
        .address_space:  global
        .offset:         0
        .size:           8
        .value_kind:     global_buffer
      - .offset:         8
        .size:           8
        .value_kind:     by_value
      - .actual_access:  read_only
        .address_space:  global
        .offset:         16
        .size:           8
        .value_kind:     global_buffer
      - .actual_access:  read_only
        .address_space:  global
        .offset:         24
        .size:           8
        .value_kind:     global_buffer
      - .actual_access:  read_only
        .address_space:  global
        .offset:         32
        .size:           8
        .value_kind:     global_buffer
      - .offset:         40
        .size:           8
        .value_kind:     by_value
      - .actual_access:  read_only
        .address_space:  global
        .offset:         48
        .size:           8
        .value_kind:     global_buffer
      - .actual_access:  read_only
        .address_space:  global
        .offset:         56
        .size:           8
        .value_kind:     global_buffer
      - .offset:         64
        .size:           4
        .value_kind:     by_value
      - .actual_access:  read_only
        .address_space:  global
        .offset:         72
        .size:           8
        .value_kind:     global_buffer
      - .actual_access:  read_only
        .address_space:  global
        .offset:         80
        .size:           8
        .value_kind:     global_buffer
      - .actual_access:  read_only
        .address_space:  global
        .offset:         88
        .size:           8
        .value_kind:     global_buffer
      - .actual_access:  write_only
        .address_space:  global
        .offset:         96
        .size:           8
        .value_kind:     global_buffer
    .group_segment_fixed_size: 0
    .kernarg_segment_align: 8
    .kernarg_segment_size: 104
    .language:       OpenCL C
    .language_version:
      - 2
      - 0
    .max_flat_workgroup_size: 64
    .name:           fft_rtc_back_len26_factors_13_2_wgs_64_tpt_2_halfLds_dp_op_CI_CI_unitstride_sbrr_C2R_dirReg
    .private_segment_fixed_size: 28
    .sgpr_count:     48
    .sgpr_spill_count: 0
    .symbol:         fft_rtc_back_len26_factors_13_2_wgs_64_tpt_2_halfLds_dp_op_CI_CI_unitstride_sbrr_C2R_dirReg.kd
    .uniform_work_group_size: 1
    .uses_dynamic_stack: false
    .vgpr_count:     256
    .vgpr_spill_count: 6
    .wavefront_size: 32
    .workgroup_processor_mode: 1
amdhsa.target:   amdgcn-amd-amdhsa--gfx1201
amdhsa.version:
  - 1
  - 2
...

	.end_amdgpu_metadata
